;; amdgpu-corpus repo=ROCm/rocFFT kind=compiled arch=gfx906 opt=O3
	.text
	.amdgcn_target "amdgcn-amd-amdhsa--gfx906"
	.amdhsa_code_object_version 6
	.protected	bluestein_single_fwd_len80_dim1_dp_op_CI_CI ; -- Begin function bluestein_single_fwd_len80_dim1_dp_op_CI_CI
	.globl	bluestein_single_fwd_len80_dim1_dp_op_CI_CI
	.p2align	8
	.type	bluestein_single_fwd_len80_dim1_dp_op_CI_CI,@function
bluestein_single_fwd_len80_dim1_dp_op_CI_CI: ; @bluestein_single_fwd_len80_dim1_dp_op_CI_CI
; %bb.0:
	v_mul_u32_u24_e32 v1, 0x199a, v0
	s_load_dwordx4 s[8:11], s[4:5], 0x28
	v_lshrrev_b32_e32 v1, 16, v1
	v_mad_u64_u32 v[106:107], s[0:1], s6, 6, v[1:2]
	v_mov_b32_e32 v107, 0
	s_waitcnt lgkmcnt(0)
	v_cmp_gt_u64_e32 vcc, s[8:9], v[106:107]
	s_and_saveexec_b64 s[0:1], vcc
	s_cbranch_execz .LBB0_15
; %bb.1:
	s_load_dwordx4 s[12:15], s[4:5], 0x18
	v_mul_lo_u16_e32 v1, 10, v1
	v_sub_u16_e32 v109, v0, v1
	v_or_b32_e32 v108, 16, v109
	v_or_b32_e32 v111, 32, v109
	s_waitcnt lgkmcnt(0)
	s_load_dwordx4 s[0:3], s[12:13], 0x0
	v_or_b32_e32 v110, 48, v109
	v_or_b32_e32 v112, 64, v109
	v_lshlrev_b32_e32 v62, 4, v109
	s_waitcnt lgkmcnt(0)
	v_mad_u64_u32 v[0:1], s[6:7], s2, v106, 0
	v_mad_u64_u32 v[2:3], s[6:7], s0, v109, 0
	s_load_dwordx2 s[6:7], s[4:5], 0x0
	v_mad_u64_u32 v[4:5], s[2:3], s3, v106, v[1:2]
	v_mad_u64_u32 v[8:9], s[2:3], s0, v111, 0
	;; [unrolled: 1-line block ×3, first 2 shown]
	v_mov_b32_e32 v1, v4
	v_lshlrev_b64 v[0:1], 4, v[0:1]
	v_mov_b32_e32 v6, s11
	v_mov_b32_e32 v3, v5
	v_add_co_u32_e32 v20, vcc, s10, v0
	v_addc_co_u32_e32 v21, vcc, v6, v1, vcc
	v_lshlrev_b64 v[0:1], 4, v[2:3]
	v_mad_u64_u32 v[2:3], s[2:3], s0, v108, 0
	v_add_co_u32_e32 v0, vcc, v20, v0
	v_addc_co_u32_e32 v1, vcc, v21, v1, vcc
	global_load_dwordx4 v[22:25], v[0:1], off
	v_mov_b32_e32 v0, v3
	v_mad_u64_u32 v[0:1], s[2:3], s1, v108, v[0:1]
	v_mad_u64_u32 v[34:35], s[2:3], s0, v112, 0
	v_mov_b32_e32 v3, v0
	v_lshlrev_b64 v[0:1], 4, v[2:3]
	v_mov_b32_e32 v2, v9
	v_mad_u64_u32 v[2:3], s[2:3], s1, v111, v[2:3]
	v_add_co_u32_e32 v0, vcc, v20, v0
	v_mov_b32_e32 v9, v2
	v_lshlrev_b64 v[2:3], 4, v[8:9]
	v_mad_u64_u32 v[8:9], s[2:3], s0, v110, 0
	v_addc_co_u32_e32 v1, vcc, v21, v1, vcc
	v_add_co_u32_e32 v2, vcc, v20, v2
	v_mad_u64_u32 v[9:10], s[2:3], s1, v110, v[9:10]
	s_waitcnt lgkmcnt(0)
	global_load_dwordx4 v[12:15], v62, s[6:7]
	global_load_dwordx4 v[4:7], v62, s[6:7] offset:256
	v_addc_co_u32_e32 v3, vcc, v21, v3, vcc
	global_load_dwordx4 v[26:29], v[0:1], off
	global_load_dwordx4 v[30:33], v[2:3], off
	v_mov_b32_e32 v2, v35
	v_mad_u64_u32 v[2:3], s[2:3], s1, v112, v[2:3]
	v_lshlrev_b64 v[0:1], 4, v[8:9]
	global_load_dwordx4 v[16:19], v62, s[6:7] offset:512
	global_load_dwordx4 v[8:11], v62, s[6:7] offset:768
	v_add_co_u32_e32 v42, vcc, v20, v0
	v_mov_b32_e32 v35, v2
	v_addc_co_u32_e32 v43, vcc, v21, v1, vcc
	v_lshlrev_b64 v[0:1], 4, v[34:35]
	s_mov_b32 s2, 0xaaaaaaab
	v_add_co_u32_e32 v44, vcc, v20, v0
	v_addc_co_u32_e32 v45, vcc, v21, v1, vcc
	global_load_dwordx4 v[34:37], v[42:43], off
	global_load_dwordx4 v[0:3], v62, s[6:7] offset:1024
	global_load_dwordx4 v[38:41], v[44:45], off
	v_mul_hi_u32 v42, v106, s2
	v_mov_b32_e32 v43, s7
	v_add_co_u32_e32 v104, vcc, s6, v62
	v_lshrrev_b32_e32 v42, 2, v42
	v_mul_lo_u32 v42, v42, 6
	v_addc_co_u32_e32 v105, vcc, 0, v43, vcc
	s_load_dwordx2 s[2:3], s[4:5], 0x38
	s_load_dwordx4 s[8:11], s[14:15], 0x0
	v_sub_u32_e32 v42, v106, v42
	v_mul_u32_u24_e32 v114, 0x50, v42
	v_add_co_u32_e32 v72, vcc, 10, v109
	v_lshl_add_u32 v107, v114, 4, v62
	v_cmp_gt_u16_e32 vcc, 6, v109
	s_waitcnt vmcnt(8)
	v_mul_f64 v[42:43], v[24:25], v[14:15]
	v_mul_f64 v[44:45], v[22:23], v[14:15]
	s_waitcnt vmcnt(6)
	v_mul_f64 v[46:47], v[28:29], v[6:7]
	v_mul_f64 v[48:49], v[26:27], v[6:7]
	;; [unrolled: 3-line block ×3, first 2 shown]
	v_fma_f64 v[22:23], v[22:23], v[12:13], v[42:43]
	v_fma_f64 v[24:25], v[24:25], v[12:13], -v[44:45]
	v_fma_f64 v[26:27], v[26:27], v[4:5], v[46:47]
	v_fma_f64 v[28:29], v[28:29], v[4:5], -v[48:49]
	v_or_b32_e32 v42, v114, v109
	v_lshlrev_b32_e32 v113, 4, v42
	v_fma_f64 v[30:31], v[30:31], v[16:17], v[50:51]
	v_fma_f64 v[32:33], v[32:33], v[16:17], -v[52:53]
	s_waitcnt vmcnt(2)
	v_mul_f64 v[54:55], v[36:37], v[10:11]
	v_mul_f64 v[56:57], v[34:35], v[10:11]
	s_waitcnt vmcnt(0)
	v_mul_f64 v[58:59], v[40:41], v[2:3]
	v_mul_f64 v[60:61], v[38:39], v[2:3]
	ds_write_b128 v113, v[22:25]
	v_fma_f64 v[34:35], v[34:35], v[8:9], v[54:55]
	v_fma_f64 v[36:37], v[36:37], v[8:9], -v[56:57]
	v_fma_f64 v[38:39], v[38:39], v[0:1], v[58:59]
	v_fma_f64 v[40:41], v[40:41], v[0:1], -v[60:61]
	ds_write_b128 v107, v[26:29] offset:256
	ds_write_b128 v107, v[30:33] offset:512
	;; [unrolled: 1-line block ×4, first 2 shown]
	s_and_saveexec_b64 s[12:13], vcc
	s_cbranch_execz .LBB0_3
; %bb.2:
	v_mad_u64_u32 v[22:23], s[14:15], s0, v72, 0
	v_mad_u64_u32 v[23:24], s[14:15], s1, v72, v[23:24]
	s_lshl_b64 s[14:15], s[0:1], 8
	v_mov_b32_e32 v56, s15
	v_lshlrev_b64 v[22:23], 4, v[22:23]
	v_add_co_u32_e64 v36, s[0:1], v20, v22
	v_addc_co_u32_e64 v37, s[0:1], v21, v23, s[0:1]
	v_add_co_u32_e64 v38, s[0:1], s14, v36
	v_addc_co_u32_e64 v39, s[0:1], v37, v56, s[0:1]
	;; [unrolled: 2-line block ×3, first 2 shown]
	global_load_dwordx4 v[20:23], v[36:37], off
	global_load_dwordx4 v[24:27], v[38:39], off
	global_load_dwordx4 v[28:31], v[104:105], off offset:160
	global_load_dwordx4 v[32:35], v[104:105], off offset:416
	v_add_co_u32_e64 v54, s[0:1], s14, v52
	v_addc_co_u32_e64 v55, s[0:1], v53, v56, s[0:1]
	global_load_dwordx4 v[36:39], v[52:53], off
	global_load_dwordx4 v[40:43], v[54:55], off
	global_load_dwordx4 v[44:47], v[104:105], off offset:672
	global_load_dwordx4 v[48:51], v[104:105], off offset:928
	v_add_co_u32_e64 v60, s[0:1], s14, v54
	v_addc_co_u32_e64 v61, s[0:1], v55, v56, s[0:1]
	global_load_dwordx4 v[52:55], v[104:105], off offset:1184
	global_load_dwordx4 v[56:59], v[60:61], off
	s_waitcnt vmcnt(7)
	v_mul_f64 v[60:61], v[22:23], v[30:31]
	v_mul_f64 v[30:31], v[20:21], v[30:31]
	s_waitcnt vmcnt(6)
	v_mul_f64 v[62:63], v[26:27], v[34:35]
	v_mul_f64 v[34:35], v[24:25], v[34:35]
	;; [unrolled: 3-line block ×4, first 2 shown]
	v_fma_f64 v[20:21], v[20:21], v[28:29], v[60:61]
	v_fma_f64 v[22:23], v[22:23], v[28:29], -v[30:31]
	s_waitcnt vmcnt(0)
	v_mul_f64 v[68:69], v[58:59], v[54:55]
	v_mul_f64 v[54:55], v[56:57], v[54:55]
	v_fma_f64 v[24:25], v[24:25], v[32:33], v[62:63]
	v_fma_f64 v[26:27], v[26:27], v[32:33], -v[34:35]
	v_fma_f64 v[28:29], v[36:37], v[44:45], v[64:65]
	v_fma_f64 v[30:31], v[38:39], v[44:45], -v[46:47]
	;; [unrolled: 2-line block ×4, first 2 shown]
	ds_write_b128 v107, v[20:23] offset:160
	ds_write_b128 v107, v[24:27] offset:416
	;; [unrolled: 1-line block ×5, first 2 shown]
.LBB0_3:
	s_or_b64 exec, exec, s[12:13]
	s_waitcnt lgkmcnt(0)
	; wave barrier
	s_waitcnt lgkmcnt(0)
	ds_read_b128 v[56:59], v113
	ds_read_b128 v[24:27], v107 offset:256
	ds_read_b128 v[48:51], v107 offset:512
	;; [unrolled: 1-line block ×4, first 2 shown]
	s_load_dwordx2 s[12:13], s[4:5], 0x8
                                        ; implicit-def: $vgpr28_vgpr29
                                        ; implicit-def: $vgpr32_vgpr33
                                        ; implicit-def: $vgpr40_vgpr41
                                        ; implicit-def: $vgpr44_vgpr45
                                        ; implicit-def: $vgpr36_vgpr37
	s_and_saveexec_b64 s[0:1], vcc
	s_cbranch_execz .LBB0_5
; %bb.4:
	ds_read_b128 v[28:31], v107 offset:160
	ds_read_b128 v[36:39], v107 offset:416
	;; [unrolled: 1-line block ×5, first 2 shown]
.LBB0_5:
	s_or_b64 exec, exec, s[0:1]
	s_waitcnt lgkmcnt(0)
	v_add_f64 v[60:61], v[56:57], v[24:25]
	v_add_f64 v[62:63], v[48:49], v[52:53]
	v_add_f64 v[64:65], v[26:27], -v[22:23]
	v_add_f64 v[66:67], v[24:25], v[20:21]
	s_mov_b32 s0, 0x134454ff
	s_mov_b32 s1, 0x3fee6f0e
	v_add_f64 v[68:69], v[50:51], -v[54:55]
	v_add_f64 v[70:71], v[24:25], -v[48:49]
	v_add_f64 v[60:61], v[60:61], v[48:49]
	v_fma_f64 v[62:63], v[62:63], -0.5, v[56:57]
	v_add_f64 v[73:74], v[20:21], -v[52:53]
	v_fma_f64 v[56:57], v[66:67], -0.5, v[56:57]
	s_mov_b32 s14, 0x4755a5e
	s_mov_b32 s15, 0x3fe2cf23
	;; [unrolled: 1-line block ×4, first 2 shown]
	v_add_f64 v[60:61], v[60:61], v[52:53]
	v_fma_f64 v[66:67], v[64:65], s[0:1], v[62:63]
	v_add_f64 v[70:71], v[70:71], v[73:74]
	v_fma_f64 v[62:63], v[64:65], s[16:17], v[62:63]
	v_fma_f64 v[75:76], v[68:69], s[16:17], v[56:57]
	v_add_f64 v[77:78], v[52:53], -v[20:21]
	v_fma_f64 v[56:57], v[68:69], s[0:1], v[56:57]
	v_add_f64 v[79:80], v[58:59], v[26:27]
	v_add_f64 v[73:74], v[60:61], v[20:21]
	v_fma_f64 v[60:61], v[68:69], s[14:15], v[66:67]
	v_add_f64 v[66:67], v[48:49], -v[24:25]
	v_add_f64 v[81:82], v[50:51], v[54:55]
	s_mov_b32 s19, 0xbfe2cf23
	s_mov_b32 s18, s14
	v_fma_f64 v[62:63], v[68:69], s[18:19], v[62:63]
	v_fma_f64 v[68:69], v[64:65], s[14:15], v[75:76]
	v_add_f64 v[75:76], v[26:27], v[22:23]
	v_fma_f64 v[56:57], v[64:65], s[18:19], v[56:57]
	v_add_f64 v[66:67], v[66:67], v[77:78]
	v_add_f64 v[64:65], v[79:80], v[50:51]
	v_fma_f64 v[79:80], v[81:82], -0.5, v[58:59]
	v_add_f64 v[20:21], v[24:25], -v[20:21]
	s_mov_b32 s4, 0x372fe950
	s_mov_b32 s5, 0x3fd3c6ef
	v_fma_f64 v[77:78], v[70:71], s[4:5], v[60:61]
	v_add_f64 v[24:25], v[48:49], -v[52:53]
	v_fma_f64 v[48:49], v[75:76], -0.5, v[58:59]
	v_fma_f64 v[89:90], v[66:67], s[4:5], v[56:57]
	v_add_f64 v[52:53], v[64:65], v[54:55]
	v_fma_f64 v[56:57], v[20:21], s[16:17], v[79:80]
	v_add_f64 v[58:59], v[26:27], -v[50:51]
	v_add_f64 v[60:61], v[22:23], -v[54:55]
	;; [unrolled: 1-line block ×4, first 2 shown]
	v_add_f64 v[54:55], v[32:33], v[40:41]
	v_fma_f64 v[64:65], v[24:25], s[0:1], v[48:49]
	v_add_f64 v[75:76], v[52:53], v[22:23]
	v_fma_f64 v[22:23], v[24:25], s[18:19], v[56:57]
	v_fma_f64 v[52:53], v[24:25], s[16:17], v[48:49]
	v_add_f64 v[83:84], v[58:59], v[60:61]
	v_add_f64 v[56:57], v[34:35], v[42:43]
	;; [unrolled: 1-line block ×3, first 2 shown]
	v_fma_f64 v[48:49], v[54:55], -0.5, v[28:29]
	v_add_f64 v[54:55], v[44:45], v[36:37]
	v_fma_f64 v[81:82], v[70:71], s[4:5], v[62:63]
	v_fma_f64 v[85:86], v[66:67], s[4:5], v[68:69]
	;; [unrolled: 1-line block ×4, first 2 shown]
	v_add_f64 v[26:27], v[26:27], v[50:51]
	v_add_f64 v[50:51], v[38:39], -v[46:47]
	v_fma_f64 v[20:21], v[20:21], s[14:15], v[52:53]
	v_add_f64 v[68:69], v[34:35], -v[42:43]
	v_fma_f64 v[52:53], v[54:55], -0.5, v[28:29]
	v_fma_f64 v[54:55], v[56:57], -0.5, v[30:31]
	v_add_f64 v[56:57], v[36:37], -v[44:45]
	v_add_f64 v[60:61], v[32:33], -v[40:41]
	v_fma_f64 v[58:59], v[58:59], -0.5, v[30:31]
	v_fma_f64 v[24:25], v[24:25], s[14:15], v[62:63]
	v_add_f64 v[62:63], v[36:37], -v[32:33]
	v_add_f64 v[64:65], v[44:45], -v[40:41]
	v_fma_f64 v[66:67], v[50:51], s[16:17], v[48:49]
	v_add_f64 v[79:80], v[32:33], -v[36:37]
	v_add_f64 v[91:92], v[40:41], -v[44:45]
	;; [unrolled: 3-line block ×4, first 2 shown]
	v_fma_f64 v[117:118], v[60:61], s[16:17], v[58:59]
	v_add_f64 v[70:71], v[64:65], v[62:63]
	v_fma_f64 v[119:120], v[68:69], s[18:19], v[66:67]
	v_add_f64 v[66:67], v[91:92], v[79:80]
	;; [unrolled: 2-line block ×4, first 2 shown]
	v_fma_f64 v[97:98], v[56:57], s[14:15], v[117:118]
	v_fma_f64 v[79:80], v[83:84], s[4:5], v[22:23]
	;; [unrolled: 1-line block ×9, first 2 shown]
	v_mul_lo_u16_e32 v93, 5, v109
	v_add_lshl_u32 v116, v114, v93, 4
	v_mul_u32_u24_e32 v115, 5, v72
	s_waitcnt lgkmcnt(0)
	; wave barrier
	ds_write_b128 v116, v[73:76]
	ds_write_b128 v116, v[77:80] offset:16
	ds_write_b128 v116, v[85:88] offset:32
	;; [unrolled: 1-line block ×4, first 2 shown]
	s_and_saveexec_b64 s[16:17], vcc
	s_cbranch_execz .LBB0_7
; %bb.6:
	v_mul_f64 v[79:80], v[56:57], s[0:1]
	v_add_f64 v[30:31], v[30:31], v[38:39]
	v_add_f64 v[28:29], v[28:29], v[36:37]
	v_mul_f64 v[73:74], v[50:51], s[0:1]
	v_mul_f64 v[75:76], v[68:69], s[14:15]
	;; [unrolled: 1-line block ×5, first 2 shown]
	v_add_f64 v[54:55], v[54:55], -v[79:80]
	v_add_f64 v[30:31], v[34:35], v[30:31]
	v_add_f64 v[28:29], v[32:33], v[28:29]
	;; [unrolled: 1-line block ×3, first 2 shown]
	v_mul_f64 v[36:37], v[50:51], s[14:15]
	v_mul_f64 v[56:57], v[56:57], s[14:15]
	v_add_f64 v[58:59], v[77:78], v[58:59]
	v_add_f64 v[34:35], v[52:53], -v[68:69]
	v_mul_f64 v[48:49], v[62:63], s[4:5]
	v_add_f64 v[38:39], v[54:55], -v[38:39]
	v_add_f64 v[42:43], v[42:43], v[30:31]
	v_add_f64 v[28:29], v[40:41], v[28:29]
	v_mul_f64 v[70:71], v[70:71], s[4:5]
	v_add_f64 v[32:33], v[75:76], v[32:33]
	v_mul_f64 v[50:51], v[66:67], s[4:5]
	v_mul_f64 v[52:53], v[64:65], s[4:5]
	v_add_f64 v[56:57], v[58:59], -v[56:57]
	v_add_f64 v[40:41], v[36:37], v[34:35]
	v_add_f64 v[34:35], v[48:49], v[38:39]
	;; [unrolled: 1-line block ×7, first 2 shown]
	v_add_lshl_u32 v40, v114, v115, 4
	ds_write_b128 v40, v[36:39]
	ds_write_b128 v40, v[32:35] offset:16
	ds_write_b128 v40, v[28:31] offset:32
	;; [unrolled: 1-line block ×4, first 2 shown]
.LBB0_7:
	s_or_b64 exec, exec, s[16:17]
	v_add_co_u32_e64 v28, s[0:1], -5, v109
	v_addc_co_u32_e64 v29, s[0:1], 0, -1, s[0:1]
	v_cmp_gt_u16_e64 s[0:1], 5, v109
	v_cndmask_b32_e64 v77, v29, 0, s[0:1]
	v_cndmask_b32_e64 v76, v28, v109, s[0:1]
	v_lshlrev_b64 v[28:29], 4, v[76:77]
	v_mov_b32_e32 v30, s13
	v_add_co_u32_e64 v28, s[0:1], s12, v28
	v_addc_co_u32_e64 v29, s[0:1], v30, v29, s[0:1]
	s_waitcnt lgkmcnt(0)
	; wave barrier
	s_waitcnt lgkmcnt(0)
	ds_read_b128 v[44:47], v113
	ds_read_b128 v[32:35], v107 offset:640
	ds_read_b128 v[48:51], v107 offset:160
	;; [unrolled: 1-line block ×7, first 2 shown]
	global_load_dwordx4 v[28:31], v[28:29], off
	s_movk_i32 s0, 0xcd
	v_mov_b32_e32 v77, 4
	s_add_u32 s4, s6, 0x500
	s_addc_u32 s5, s7, 0
	s_mov_b32 s7, 0x3fe6a09e
	s_waitcnt vmcnt(0) lgkmcnt(6)
	v_mul_f64 v[64:65], v[34:35], v[30:31]
	v_fma_f64 v[64:65], v[32:33], v[28:29], -v[64:65]
	v_mul_f64 v[32:33], v[32:33], v[30:31]
	v_fma_f64 v[66:67], v[34:35], v[28:29], v[32:33]
	v_mul_lo_u16_sdwa v32, v72, s0 dst_sel:DWORD dst_unused:UNUSED_PAD src0_sel:BYTE_0 src1_sel:DWORD
	v_lshrrev_b16_e32 v81, 10, v32
	v_mul_lo_u16_e32 v32, 5, v81
	v_sub_u16_e32 v82, v72, v32
	v_lshlrev_b32_sdwa v32, v77, v82 dst_sel:DWORD dst_unused:UNUSED_PAD src0_sel:DWORD src1_sel:BYTE_0
	global_load_dwordx4 v[32:35], v32, s[12:13]
	s_waitcnt vmcnt(0) lgkmcnt(4)
	v_mul_f64 v[68:69], v[38:39], v[34:35]
	v_fma_f64 v[68:69], v[36:37], v[32:33], -v[68:69]
	v_mul_f64 v[36:37], v[36:37], v[34:35]
	v_fma_f64 v[70:71], v[38:39], v[32:33], v[36:37]
	v_add_u16_e32 v36, 20, v109
	v_mul_lo_u16_sdwa v37, v36, s0 dst_sel:DWORD dst_unused:UNUSED_PAD src0_sel:BYTE_0 src1_sel:DWORD
	v_lshrrev_b16_e32 v83, 10, v37
	v_mul_lo_u16_e32 v37, 5, v83
	v_sub_u16_e32 v84, v36, v37
	v_lshlrev_b32_sdwa v36, v77, v84 dst_sel:DWORD dst_unused:UNUSED_PAD src0_sel:DWORD src1_sel:BYTE_0
	global_load_dwordx4 v[36:39], v36, s[12:13]
	s_waitcnt vmcnt(0) lgkmcnt(2)
	v_mul_f64 v[72:73], v[42:43], v[38:39]
	v_fma_f64 v[72:73], v[40:41], v[36:37], -v[72:73]
	v_mul_f64 v[40:41], v[40:41], v[38:39]
	v_fma_f64 v[74:75], v[42:43], v[36:37], v[40:41]
	v_add_u16_e32 v40, 30, v109
	v_mul_lo_u16_sdwa v41, v40, s0 dst_sel:DWORD dst_unused:UNUSED_PAD src0_sel:BYTE_0 src1_sel:DWORD
	v_lshrrev_b16_e32 v85, 10, v41
	v_mul_lo_u16_e32 v41, 5, v85
	v_sub_u16_e32 v86, v40, v41
	v_lshlrev_b32_sdwa v40, v77, v86 dst_sel:DWORD dst_unused:UNUSED_PAD src0_sel:DWORD src1_sel:BYTE_0
	global_load_dwordx4 v[40:43], v40, s[12:13]
	v_cmp_lt_u16_e64 s[0:1], 4, v109
	s_waitcnt lgkmcnt(0)
	; wave barrier
	s_waitcnt vmcnt(0) lgkmcnt(0)
	v_mul_f64 v[77:78], v[62:63], v[42:43]
	v_fma_f64 v[77:78], v[60:61], v[40:41], -v[77:78]
	v_mul_f64 v[60:61], v[60:61], v[42:43]
	v_fma_f64 v[79:80], v[62:63], v[40:41], v[60:61]
	v_add_f64 v[60:61], v[44:45], -v[64:65]
	v_add_f64 v[62:63], v[46:47], -v[66:67]
	;; [unrolled: 1-line block ×8, first 2 shown]
	v_fma_f64 v[44:45], v[44:45], 2.0, -v[60:61]
	v_fma_f64 v[46:47], v[46:47], 2.0, -v[62:63]
	v_cndmask_b32_e64 v77, 0, 10, s[0:1]
	v_add_u32_e32 v76, v76, v77
	v_add_lshl_u32 v120, v114, v76, 4
	ds_write_b128 v120, v[44:47]
	ds_write_b128 v120, v[60:63] offset:80
	v_mad_legacy_u16 v44, v81, 10, v82
	v_and_b32_e32 v44, 0xff, v44
	v_add_lshl_u32 v119, v114, v44, 4
	v_mad_legacy_u16 v44, v83, 10, v84
	v_and_b32_e32 v44, 0xff, v44
	v_fma_f64 v[48:49], v[48:49], 2.0, -v[64:65]
	v_fma_f64 v[50:51], v[50:51], 2.0, -v[66:67]
	;; [unrolled: 1-line block ×6, first 2 shown]
	v_add_lshl_u32 v118, v114, v44, 4
	v_mad_legacy_u16 v44, v85, 10, v86
	v_and_b32_e32 v44, 0xff, v44
	v_add_lshl_u32 v117, v114, v44, 4
	v_mov_b32_e32 v45, s13
	s_movk_i32 s0, 0x70
	v_mov_b32_e32 v44, s12
	v_mad_u64_u32 v[92:93], s[0:1], v109, s0, v[44:45]
	ds_write_b128 v119, v[48:51]
	ds_write_b128 v119, v[64:67] offset:80
	ds_write_b128 v118, v[52:55]
	ds_write_b128 v118, v[68:71] offset:80
	;; [unrolled: 2-line block ×3, first 2 shown]
	s_waitcnt lgkmcnt(0)
	; wave barrier
	s_waitcnt lgkmcnt(0)
	ds_read_b128 v[72:75], v113
	ds_read_b128 v[56:59], v107 offset:160
	ds_read_b128 v[60:63], v107 offset:320
	ds_read_b128 v[68:71], v107 offset:480
	ds_read_b128 v[76:79], v107 offset:640
	ds_read_b128 v[80:83], v107 offset:800
	ds_read_b128 v[84:87], v107 offset:960
	ds_read_b128 v[88:91], v107 offset:1120
	global_load_dwordx4 v[44:47], v[92:93], off offset:128
	global_load_dwordx4 v[48:51], v[92:93], off offset:112
	global_load_dwordx4 v[52:55], v[92:93], off offset:96
	global_load_dwordx4 v[64:67], v[92:93], off offset:80
	s_mov_b32 s0, 0x667f3bcd
	s_mov_b32 s1, 0xbfe6a09e
	s_mov_b32 s6, s0
	s_waitcnt vmcnt(0) lgkmcnt(6)
	v_mul_f64 v[94:95], v[58:59], v[66:67]
	v_fma_f64 v[94:95], v[56:57], v[64:65], -v[94:95]
	v_mul_f64 v[56:57], v[56:57], v[66:67]
	v_fma_f64 v[96:97], v[58:59], v[64:65], v[56:57]
	s_waitcnt lgkmcnt(5)
	v_mul_f64 v[56:57], v[62:63], v[54:55]
	v_fma_f64 v[98:99], v[60:61], v[52:53], -v[56:57]
	v_mul_f64 v[56:57], v[60:61], v[54:55]
	v_fma_f64 v[100:101], v[62:63], v[52:53], v[56:57]
	s_waitcnt lgkmcnt(4)
	;; [unrolled: 5-line block ×3, first 2 shown]
	v_mul_f64 v[56:57], v[78:79], v[46:47]
	v_fma_f64 v[123:124], v[76:77], v[44:45], -v[56:57]
	v_mul_f64 v[56:57], v[76:77], v[46:47]
	v_fma_f64 v[76:77], v[78:79], v[44:45], v[56:57]
	global_load_dwordx4 v[56:59], v[92:93], off offset:176
	global_load_dwordx4 v[60:63], v[92:93], off offset:160
	;; [unrolled: 1-line block ×3, first 2 shown]
	v_add_f64 v[76:77], v[74:75], -v[76:77]
	v_fma_f64 v[74:75], v[74:75], 2.0, -v[76:77]
	s_waitcnt vmcnt(0) lgkmcnt(2)
	v_mul_f64 v[78:79], v[82:83], v[70:71]
	v_fma_f64 v[78:79], v[80:81], v[68:69], -v[78:79]
	v_mul_f64 v[80:81], v[80:81], v[70:71]
	v_add_f64 v[78:79], v[94:95], -v[78:79]
	v_fma_f64 v[80:81], v[82:83], v[68:69], v[80:81]
	s_waitcnt lgkmcnt(1)
	v_mul_f64 v[82:83], v[86:87], v[62:63]
	v_fma_f64 v[94:95], v[94:95], 2.0, -v[78:79]
	v_add_f64 v[80:81], v[96:97], -v[80:81]
	v_fma_f64 v[82:83], v[84:85], v[60:61], -v[82:83]
	v_mul_f64 v[84:85], v[84:85], v[62:63]
	v_fma_f64 v[96:97], v[96:97], 2.0, -v[80:81]
	v_add_f64 v[82:83], v[98:99], -v[82:83]
	v_fma_f64 v[84:85], v[86:87], v[60:61], v[84:85]
	s_waitcnt lgkmcnt(0)
	v_mul_f64 v[86:87], v[90:91], v[58:59]
	v_fma_f64 v[92:93], v[98:99], 2.0, -v[82:83]
	v_add_f64 v[84:85], v[100:101], -v[84:85]
	v_fma_f64 v[86:87], v[88:89], v[56:57], -v[86:87]
	v_mul_f64 v[88:89], v[88:89], v[58:59]
	v_add_f64 v[125:126], v[76:77], v[82:83]
	v_fma_f64 v[98:99], v[100:101], 2.0, -v[84:85]
	v_add_f64 v[86:87], v[102:103], -v[86:87]
	v_fma_f64 v[88:89], v[90:91], v[56:57], v[88:89]
	v_add_f64 v[90:91], v[72:73], -v[123:124]
	v_fma_f64 v[76:77], v[76:77], 2.0, -v[125:126]
	v_add_f64 v[98:99], v[74:75], -v[98:99]
	v_fma_f64 v[100:101], v[102:103], 2.0, -v[86:87]
	;; [unrolled: 2-line block ×3, first 2 shown]
	v_add_f64 v[123:124], v[90:91], -v[84:85]
	v_add_f64 v[129:130], v[80:81], v[86:87]
	v_fma_f64 v[74:75], v[74:75], 2.0, -v[98:99]
	v_add_f64 v[100:101], v[94:95], -v[100:101]
	v_fma_f64 v[102:103], v[121:122], 2.0, -v[88:89]
	v_add_f64 v[121:122], v[72:73], -v[92:93]
	v_add_f64 v[127:128], v[78:79], -v[88:89]
	v_fma_f64 v[82:83], v[90:91], 2.0, -v[123:124]
	v_fma_f64 v[80:81], v[80:81], 2.0, -v[129:130]
	;; [unrolled: 1-line block ×3, first 2 shown]
	v_add_f64 v[102:103], v[96:97], -v[102:103]
	v_fma_f64 v[72:73], v[72:73], 2.0, -v[121:122]
	v_fma_f64 v[78:79], v[78:79], 2.0, -v[127:128]
	;; [unrolled: 1-line block ×3, first 2 shown]
	v_add_f64 v[84:85], v[72:73], -v[84:85]
	v_add_f64 v[86:87], v[74:75], -v[90:91]
	v_fma_f64 v[88:89], v[72:73], 2.0, -v[84:85]
	v_fma_f64 v[72:73], v[78:79], s[0:1], v[82:83]
	v_fma_f64 v[90:91], v[74:75], 2.0, -v[86:87]
	v_fma_f64 v[74:75], v[80:81], s[0:1], v[76:77]
	v_fma_f64 v[72:73], v[80:81], s[0:1], v[72:73]
	;; [unrolled: 1-line block ×4, first 2 shown]
	v_fma_f64 v[92:93], v[82:83], 2.0, -v[72:73]
	v_fma_f64 v[82:83], v[129:130], s[6:7], v[125:126]
	v_add_f64 v[78:79], v[98:99], v[100:101]
	v_fma_f64 v[80:81], v[129:130], s[0:1], v[80:81]
	v_fma_f64 v[94:95], v[76:77], 2.0, -v[74:75]
	v_add_f64 v[76:77], v[121:122], -v[102:103]
	v_fma_f64 v[82:83], v[127:128], s[6:7], v[82:83]
	v_fma_f64 v[98:99], v[98:99], 2.0, -v[78:79]
	v_fma_f64 v[100:101], v[123:124], 2.0, -v[80:81]
	;; [unrolled: 1-line block ×4, first 2 shown]
	ds_write_b128 v113, v[88:91]
	ds_write_b128 v107, v[92:95] offset:160
	ds_write_b128 v107, v[96:99] offset:320
	;; [unrolled: 1-line block ×7, first 2 shown]
	s_waitcnt lgkmcnt(0)
	; wave barrier
	s_waitcnt lgkmcnt(0)
	global_load_dwordx4 v[88:91], v[104:105], off offset:1280
	ds_read_b128 v[84:87], v113
	s_waitcnt vmcnt(0) lgkmcnt(0)
	v_mul_f64 v[92:93], v[86:87], v[90:91]
	v_fma_f64 v[92:93], v[84:85], v[88:89], -v[92:93]
	v_mul_f64 v[84:85], v[84:85], v[90:91]
	v_fma_f64 v[94:95], v[86:87], v[88:89], v[84:85]
	v_lshlrev_b32_e32 v84, 4, v109
	ds_write_b128 v113, v[92:95]
	global_load_dwordx4 v[89:92], v84, s[4:5] offset:256
	ds_read_b128 v[85:88], v107 offset:256
	s_waitcnt vmcnt(0) lgkmcnt(0)
	v_mul_f64 v[93:94], v[87:88], v[91:92]
	v_fma_f64 v[93:94], v[85:86], v[89:90], -v[93:94]
	v_mul_f64 v[85:86], v[85:86], v[91:92]
	v_fma_f64 v[95:96], v[87:88], v[89:90], v[85:86]
	global_load_dwordx4 v[89:92], v84, s[4:5] offset:512
	ds_read_b128 v[85:88], v107 offset:512
	ds_write_b128 v107, v[93:96] offset:256
	s_waitcnt vmcnt(0) lgkmcnt(1)
	v_mul_f64 v[93:94], v[87:88], v[91:92]
	v_fma_f64 v[93:94], v[85:86], v[89:90], -v[93:94]
	v_mul_f64 v[85:86], v[85:86], v[91:92]
	v_fma_f64 v[95:96], v[87:88], v[89:90], v[85:86]
	global_load_dwordx4 v[89:92], v84, s[4:5] offset:768
	ds_read_b128 v[85:88], v107 offset:768
	ds_write_b128 v107, v[93:96] offset:512
	;; [unrolled: 8-line block ×3, first 2 shown]
	s_waitcnt vmcnt(0) lgkmcnt(1)
	v_mul_f64 v[93:94], v[87:88], v[91:92]
	v_fma_f64 v[93:94], v[85:86], v[89:90], -v[93:94]
	v_mul_f64 v[85:86], v[85:86], v[91:92]
	v_fma_f64 v[95:96], v[87:88], v[89:90], v[85:86]
	ds_write_b128 v107, v[93:96] offset:1024
	s_and_saveexec_b64 s[6:7], vcc
	s_cbranch_execz .LBB0_9
; %bb.8:
	v_add_co_u32_e64 v96, s[0:1], s4, v84
	v_mov_b32_e32 v84, s5
	v_addc_co_u32_e64 v97, s[0:1], 0, v84, s[0:1]
	global_load_dwordx4 v[88:91], v[96:97], off offset:160
	ds_read_b128 v[84:87], v107 offset:160
	s_waitcnt vmcnt(0) lgkmcnt(0)
	v_mul_f64 v[92:93], v[86:87], v[90:91]
	v_fma_f64 v[92:93], v[84:85], v[88:89], -v[92:93]
	v_mul_f64 v[84:85], v[84:85], v[90:91]
	v_fma_f64 v[94:95], v[86:87], v[88:89], v[84:85]
	global_load_dwordx4 v[88:91], v[96:97], off offset:416
	ds_read_b128 v[84:87], v107 offset:416
	ds_write_b128 v107, v[92:95] offset:160
	s_waitcnt vmcnt(0) lgkmcnt(1)
	v_mul_f64 v[92:93], v[86:87], v[90:91]
	v_fma_f64 v[92:93], v[84:85], v[88:89], -v[92:93]
	v_mul_f64 v[84:85], v[84:85], v[90:91]
	v_fma_f64 v[94:95], v[86:87], v[88:89], v[84:85]
	global_load_dwordx4 v[88:91], v[96:97], off offset:672
	ds_read_b128 v[84:87], v107 offset:672
	ds_write_b128 v107, v[92:95] offset:416
	s_waitcnt vmcnt(0) lgkmcnt(1)
	v_mul_f64 v[92:93], v[86:87], v[90:91]
	v_fma_f64 v[92:93], v[84:85], v[88:89], -v[92:93]
	v_mul_f64 v[84:85], v[84:85], v[90:91]
	v_fma_f64 v[94:95], v[86:87], v[88:89], v[84:85]
	global_load_dwordx4 v[88:91], v[96:97], off offset:928
	ds_read_b128 v[84:87], v107 offset:928
	ds_write_b128 v107, v[92:95] offset:672
	s_waitcnt vmcnt(0) lgkmcnt(1)
	v_mul_f64 v[92:93], v[86:87], v[90:91]
	v_fma_f64 v[92:93], v[84:85], v[88:89], -v[92:93]
	v_mul_f64 v[84:85], v[84:85], v[90:91]
	v_fma_f64 v[94:95], v[86:87], v[88:89], v[84:85]
	global_load_dwordx4 v[88:91], v[96:97], off offset:1184
	ds_read_b128 v[84:87], v107 offset:1184
	ds_write_b128 v107, v[92:95] offset:928
	s_waitcnt vmcnt(0) lgkmcnt(1)
	v_mul_f64 v[92:93], v[86:87], v[90:91]
	v_fma_f64 v[92:93], v[84:85], v[88:89], -v[92:93]
	v_mul_f64 v[84:85], v[84:85], v[90:91]
	v_fma_f64 v[94:95], v[86:87], v[88:89], v[84:85]
	ds_write_b128 v107, v[92:95] offset:1184
.LBB0_9:
	s_or_b64 exec, exec, s[6:7]
	s_waitcnt lgkmcnt(0)
	; wave barrier
	s_waitcnt lgkmcnt(0)
	ds_read_b128 v[100:103], v113
	ds_read_b128 v[92:95], v107 offset:256
	ds_read_b128 v[96:99], v107 offset:512
	;; [unrolled: 1-line block ×4, first 2 shown]
	s_and_saveexec_b64 s[0:1], vcc
	s_cbranch_execz .LBB0_11
; %bb.10:
	v_lshlrev_b32_e32 v20, 4, v114
	v_lshl_add_u32 v24, v109, 4, v20
	ds_read_b128 v[72:75], v107 offset:160
	ds_read_b128 v[76:79], v24 offset:416
	;; [unrolled: 1-line block ×5, first 2 shown]
.LBB0_11:
	s_or_b64 exec, exec, s[0:1]
	s_waitcnt lgkmcnt(1)
	v_add_f64 v[121:122], v[96:97], v[88:89]
	v_add_f64 v[123:124], v[100:101], v[92:93]
	s_waitcnt lgkmcnt(0)
	v_add_f64 v[125:126], v[94:95], -v[86:87]
	s_mov_b32 s0, 0x134454ff
	s_mov_b32 s1, 0xbfee6f0e
	v_add_f64 v[127:128], v[98:99], -v[90:91]
	v_add_f64 v[129:130], v[92:93], -v[96:97]
	;; [unrolled: 1-line block ×3, first 2 shown]
	v_fma_f64 v[121:122], v[121:122], -0.5, v[100:101]
	v_add_f64 v[133:134], v[92:93], v[84:85]
	v_add_f64 v[123:124], v[123:124], v[96:97]
	s_mov_b32 s4, 0x4755a5e
	s_mov_b32 s5, 0xbfe2cf23
	v_add_f64 v[143:144], v[94:95], v[86:87]
	s_mov_b32 s6, 0x372fe950
	v_add_f64 v[129:130], v[129:130], v[131:132]
	v_fma_f64 v[135:136], v[125:126], s[0:1], v[121:122]
	v_fma_f64 v[131:132], v[133:134], -0.5, v[100:101]
	v_add_f64 v[100:101], v[123:124], v[88:89]
	v_add_f64 v[133:134], v[98:99], v[90:91]
	s_mov_b32 s13, 0x3fee6f0e
	s_mov_b32 s12, s0
	;; [unrolled: 1-line block ×3, first 2 shown]
	v_add_f64 v[141:142], v[102:103], v[94:95]
	v_fma_f64 v[123:124], v[127:128], s[4:5], v[135:136]
	v_fma_f64 v[135:136], v[125:126], s[12:13], v[121:122]
	v_add_f64 v[137:138], v[96:97], -v[92:93]
	v_add_f64 v[139:140], v[88:89], -v[84:85]
	v_add_f64 v[100:101], v[100:101], v[84:85]
	v_add_f64 v[84:85], v[92:93], -v[84:85]
	v_add_f64 v[88:89], v[96:97], -v[88:89]
	v_fma_f64 v[96:97], v[143:144], -0.5, v[102:103]
	v_fma_f64 v[121:122], v[129:130], s[6:7], v[123:124]
	v_fma_f64 v[123:124], v[133:134], -0.5, v[102:103]
	s_mov_b32 s15, 0x3fe2cf23
	s_mov_b32 s14, s4
	v_fma_f64 v[145:146], v[127:128], s[12:13], v[131:132]
	v_fma_f64 v[92:93], v[127:128], s[14:15], v[135:136]
	;; [unrolled: 1-line block ×3, first 2 shown]
	v_add_f64 v[131:132], v[141:142], v[98:99]
	v_add_f64 v[133:134], v[137:138], v[139:140]
	v_fma_f64 v[135:136], v[84:85], s[12:13], v[123:124]
	v_add_f64 v[137:138], v[94:95], -v[98:99]
	v_add_f64 v[139:140], v[86:87], -v[90:91]
	v_fma_f64 v[141:142], v[88:89], s[0:1], v[96:97]
	v_add_f64 v[94:95], v[98:99], -v[94:95]
	v_add_f64 v[98:99], v[90:91], -v[86:87]
	v_fma_f64 v[96:97], v[88:89], s[12:13], v[96:97]
	v_fma_f64 v[123:124], v[84:85], s[0:1], v[123:124]
	;; [unrolled: 1-line block ×3, first 2 shown]
	v_add_f64 v[90:91], v[131:132], v[90:91]
	v_fma_f64 v[125:126], v[125:126], s[14:15], v[127:128]
	v_fma_f64 v[127:128], v[88:89], s[14:15], v[135:136]
	v_add_f64 v[131:132], v[137:138], v[139:140]
	v_fma_f64 v[135:136], v[84:85], s[14:15], v[141:142]
	v_add_f64 v[94:95], v[94:95], v[98:99]
	v_fma_f64 v[96:97], v[84:85], s[4:5], v[96:97]
	v_fma_f64 v[98:99], v[88:89], s[4:5], v[123:124]
	;; [unrolled: 1-line block ×3, first 2 shown]
	v_add_f64 v[102:103], v[90:91], v[86:87]
	v_fma_f64 v[84:85], v[129:130], s[6:7], v[92:93]
	v_fma_f64 v[123:124], v[131:132], s[6:7], v[127:128]
	;; [unrolled: 1-line block ×6, first 2 shown]
	s_waitcnt lgkmcnt(0)
	; wave barrier
	ds_write_b128 v116, v[100:103]
	ds_write_b128 v116, v[121:124] offset:16
	ds_write_b128 v116, v[88:91] offset:32
	;; [unrolled: 1-line block ×4, first 2 shown]
	s_and_saveexec_b64 s[16:17], vcc
	s_cbranch_execz .LBB0_13
; %bb.12:
	v_add_f64 v[84:85], v[26:27], v[78:79]
	v_add_f64 v[90:91], v[80:81], -v[20:21]
	v_add_f64 v[94:95], v[82:83], v[22:23]
	v_add_f64 v[86:87], v[82:83], -v[78:79]
	v_add_f64 v[88:89], v[22:23], -v[26:27]
	;; [unrolled: 1-line block ×5, first 2 shown]
	v_fma_f64 v[84:85], v[84:85], -0.5, v[74:75]
	v_add_f64 v[100:101], v[74:75], v[78:79]
	v_add_f64 v[123:124], v[78:79], -v[26:27]
	v_fma_f64 v[74:75], v[94:95], -0.5, v[74:75]
	v_add_f64 v[78:79], v[24:25], v[76:77]
	v_add_f64 v[127:128], v[80:81], v[20:21]
	v_add_f64 v[129:130], v[72:73], v[76:77]
	v_add_f64 v[86:87], v[88:89], v[86:87]
	v_fma_f64 v[94:95], v[90:91], s[12:13], v[84:85]
	v_fma_f64 v[84:85], v[90:91], s[0:1], v[84:85]
	v_add_f64 v[125:126], v[82:83], -v[22:23]
	v_fma_f64 v[88:89], v[92:93], s[0:1], v[74:75]
	v_fma_f64 v[74:75], v[92:93], s[12:13], v[74:75]
	v_add_f64 v[102:103], v[80:81], -v[76:77]
	v_add_f64 v[82:83], v[82:83], v[100:101]
	v_add_f64 v[76:77], v[76:77], -v[80:81]
	v_fma_f64 v[94:95], v[92:93], s[4:5], v[94:95]
	v_fma_f64 v[84:85], v[92:93], s[14:15], v[84:85]
	v_add_f64 v[92:93], v[98:99], v[96:97]
	v_fma_f64 v[96:97], v[78:79], -0.5, v[72:73]
	v_fma_f64 v[72:73], v[127:128], -0.5, v[72:73]
	v_add_f64 v[80:81], v[80:81], v[129:130]
	v_fma_f64 v[88:89], v[90:91], s[4:5], v[88:89]
	v_fma_f64 v[90:91], v[90:91], s[14:15], v[74:75]
	;; [unrolled: 1-line block ×4, first 2 shown]
	v_add_f64 v[84:85], v[24:25], -v[20:21]
	v_add_f64 v[121:122], v[20:21], -v[24:25]
	v_fma_f64 v[86:87], v[123:124], s[0:1], v[72:73]
	v_fma_f64 v[94:95], v[125:126], s[12:13], v[96:97]
	;; [unrolled: 1-line block ×4, first 2 shown]
	v_add_f64 v[98:99], v[22:23], v[82:83]
	v_add_f64 v[20:21], v[20:21], v[80:81]
	;; [unrolled: 1-line block ×4, first 2 shown]
	v_fma_f64 v[76:77], v[125:126], s[4:5], v[86:87]
	v_fma_f64 v[86:87], v[123:124], s[4:5], v[94:95]
	;; [unrolled: 1-line block ×4, first 2 shown]
	v_add_f64 v[26:27], v[26:27], v[98:99]
	v_add_f64 v[24:25], v[24:25], v[20:21]
	v_fma_f64 v[82:83], v[92:93], s[6:7], v[90:91]
	v_fma_f64 v[22:23], v[92:93], s[6:7], v[88:89]
	;; [unrolled: 1-line block ×6, first 2 shown]
	v_add_lshl_u32 v84, v114, v115, 4
	ds_write_b128 v84, v[24:27]
	ds_write_b128 v84, v[80:83] offset:16
	ds_write_b128 v84, v[76:79] offset:32
	;; [unrolled: 1-line block ×4, first 2 shown]
.LBB0_13:
	s_or_b64 exec, exec, s[16:17]
	s_waitcnt lgkmcnt(0)
	; wave barrier
	s_waitcnt lgkmcnt(0)
	ds_read_b128 v[20:23], v113
	ds_read_b128 v[24:27], v107 offset:160
	ds_read_b128 v[72:75], v107 offset:640
	;; [unrolled: 1-line block ×7, first 2 shown]
	s_waitcnt lgkmcnt(5)
	v_mul_f64 v[96:97], v[30:31], v[74:75]
	v_mul_f64 v[30:31], v[30:31], v[72:73]
	s_waitcnt lgkmcnt(4)
	v_mul_f64 v[98:99], v[34:35], v[78:79]
	v_mul_f64 v[34:35], v[34:35], v[76:77]
	;; [unrolled: 3-line block ×4, first 2 shown]
	v_fma_f64 v[72:73], v[28:29], v[72:73], v[96:97]
	v_fma_f64 v[30:31], v[28:29], v[74:75], -v[30:31]
	v_fma_f64 v[74:75], v[32:33], v[76:77], v[98:99]
	v_fma_f64 v[34:35], v[32:33], v[78:79], -v[34:35]
	;; [unrolled: 2-line block ×4, first 2 shown]
	v_add_f64 v[28:29], v[20:21], -v[72:73]
	v_add_f64 v[30:31], v[22:23], -v[30:31]
	;; [unrolled: 1-line block ×8, first 2 shown]
	v_fma_f64 v[20:21], v[20:21], 2.0, -v[28:29]
	v_fma_f64 v[22:23], v[22:23], 2.0, -v[30:31]
	;; [unrolled: 1-line block ×8, first 2 shown]
	s_waitcnt lgkmcnt(0)
	; wave barrier
	ds_write_b128 v120, v[20:23]
	ds_write_b128 v120, v[28:31] offset:80
	ds_write_b128 v119, v[24:27]
	ds_write_b128 v119, v[32:35] offset:80
	;; [unrolled: 2-line block ×4, first 2 shown]
	s_waitcnt lgkmcnt(0)
	; wave barrier
	s_waitcnt lgkmcnt(0)
	ds_read_b128 v[20:23], v113
	ds_read_b128 v[24:27], v107 offset:160
	ds_read_b128 v[28:31], v107 offset:320
	;; [unrolled: 1-line block ×5, first 2 shown]
	s_waitcnt lgkmcnt(4)
	v_mul_f64 v[80:81], v[66:67], v[26:27]
	v_mul_f64 v[66:67], v[66:67], v[24:25]
	s_waitcnt lgkmcnt(3)
	v_mul_f64 v[82:83], v[54:55], v[30:31]
	v_mul_f64 v[54:55], v[54:55], v[28:29]
	;; [unrolled: 3-line block ×3, first 2 shown]
	ds_read_b128 v[72:75], v107 offset:960
	ds_read_b128 v[76:79], v107 offset:1120
	s_mov_b32 s0, 0x667f3bcd
	v_fma_f64 v[24:25], v[64:65], v[24:25], v[80:81]
	v_fma_f64 v[26:27], v[64:65], v[26:27], -v[66:67]
	v_fma_f64 v[28:29], v[52:53], v[28:29], v[82:83]
	v_fma_f64 v[30:31], v[52:53], v[30:31], -v[54:55]
	;; [unrolled: 2-line block ×3, first 2 shown]
	s_waitcnt lgkmcnt(3)
	v_mul_f64 v[48:49], v[46:47], v[38:39]
	v_mul_f64 v[46:47], v[46:47], v[36:37]
	s_waitcnt lgkmcnt(1)
	v_mul_f64 v[50:51], v[62:63], v[74:75]
	v_mul_f64 v[52:53], v[62:63], v[72:73]
	;; [unrolled: 1-line block ×4, first 2 shown]
	s_waitcnt lgkmcnt(0)
	v_mul_f64 v[64:65], v[58:59], v[78:79]
	v_mul_f64 v[58:59], v[58:59], v[76:77]
	v_fma_f64 v[36:37], v[44:45], v[36:37], v[48:49]
	v_fma_f64 v[38:39], v[44:45], v[38:39], -v[46:47]
	v_fma_f64 v[44:45], v[60:61], v[72:73], v[50:51]
	v_fma_f64 v[46:47], v[60:61], v[74:75], -v[52:53]
	v_fma_f64 v[40:41], v[68:69], v[40:41], v[54:55]
	v_fma_f64 v[42:43], v[68:69], v[42:43], -v[62:63]
	v_fma_f64 v[48:49], v[56:57], v[76:77], v[64:65]
	v_fma_f64 v[50:51], v[56:57], v[78:79], -v[58:59]
	v_add_f64 v[36:37], v[20:21], -v[36:37]
	v_add_f64 v[38:39], v[22:23], -v[38:39]
	;; [unrolled: 1-line block ×8, first 2 shown]
	v_fma_f64 v[20:21], v[20:21], 2.0, -v[36:37]
	v_fma_f64 v[22:23], v[22:23], 2.0, -v[38:39]
	;; [unrolled: 1-line block ×8, first 2 shown]
	v_add_f64 v[52:53], v[36:37], v[46:47]
	v_add_f64 v[54:55], v[38:39], -v[44:45]
	v_add_f64 v[44:45], v[40:41], v[50:51]
	v_add_f64 v[46:47], v[42:43], -v[48:49]
	v_add_f64 v[48:49], v[20:21], -v[28:29]
	v_add_f64 v[50:51], v[22:23], -v[30:31]
	v_add_f64 v[30:31], v[24:25], -v[32:33]
	v_add_f64 v[28:29], v[26:27], -v[34:35]
	v_fma_f64 v[56:57], v[36:37], 2.0, -v[52:53]
	v_fma_f64 v[58:59], v[38:39], 2.0, -v[54:55]
	;; [unrolled: 1-line block ×8, first 2 shown]
	s_mov_b32 s1, 0xbfe6a09e
	s_mov_b32 s5, 0x3fe6a09e
	v_fma_f64 v[24:25], v[32:33], s[0:1], v[56:57]
	v_fma_f64 v[26:27], v[34:35], s[0:1], v[58:59]
	s_mov_b32 s4, s0
	v_fma_f64 v[40:41], v[44:45], s[4:5], v[52:53]
	v_fma_f64 v[42:43], v[46:47], s[4:5], v[54:55]
	v_add_f64 v[20:21], v[36:37], -v[20:21]
	v_add_f64 v[22:23], v[38:39], -v[22:23]
	v_add_f64 v[28:29], v[48:49], v[28:29]
	v_fma_f64 v[24:25], v[34:35], s[4:5], v[24:25]
	v_fma_f64 v[26:27], v[32:33], s[0:1], v[26:27]
	v_add_f64 v[30:31], v[50:51], -v[30:31]
	v_fma_f64 v[32:33], v[46:47], s[4:5], v[40:41]
	v_fma_f64 v[34:35], v[44:45], s[0:1], v[42:43]
	v_fma_f64 v[36:37], v[36:37], 2.0, -v[20:21]
	v_fma_f64 v[38:39], v[38:39], 2.0, -v[22:23]
	;; [unrolled: 1-line block ×8, first 2 shown]
	ds_write_b128 v113, v[36:39]
	ds_write_b128 v107, v[40:43] offset:160
	ds_write_b128 v107, v[44:47] offset:320
	;; [unrolled: 1-line block ×7, first 2 shown]
	s_waitcnt lgkmcnt(0)
	; wave barrier
	s_waitcnt lgkmcnt(0)
	ds_read_b128 v[20:23], v113
	ds_read_b128 v[24:27], v107 offset:256
	v_mad_u64_u32 v[28:29], s[0:1], s10, v106, 0
	s_mov_b32 s4, 0x9999999a
	s_waitcnt lgkmcnt(1)
	v_mul_f64 v[30:31], v[14:15], v[22:23]
	v_mul_f64 v[14:15], v[14:15], v[20:21]
	s_mov_b32 s5, 0x3f899999
	v_mad_u64_u32 v[32:33], s[0:1], s11, v106, v[29:30]
	v_fma_f64 v[20:21], v[12:13], v[20:21], v[30:31]
	v_mad_u64_u32 v[33:34], s[0:1], s8, v109, 0
	v_fma_f64 v[14:15], v[12:13], v[22:23], -v[14:15]
	v_mov_b32_e32 v29, v32
	v_mov_b32_e32 v12, v34
	v_mad_u64_u32 v[22:23], s[0:1], s9, v109, v[12:13]
	v_mul_f64 v[12:13], v[20:21], s[4:5]
	v_lshlrev_b64 v[20:21], 4, v[28:29]
	v_mov_b32_e32 v34, v22
	v_mov_b32_e32 v22, s3
	v_add_co_u32_e64 v36, s[0:1], s2, v20
	v_addc_co_u32_e64 v37, s[0:1], v22, v21, s[0:1]
	v_lshlrev_b64 v[20:21], 4, v[33:34]
	s_waitcnt lgkmcnt(0)
	v_mul_f64 v[28:29], v[6:7], v[26:27]
	v_mul_f64 v[30:31], v[6:7], v[24:25]
	v_add_co_u32_e64 v6, s[0:1], v36, v20
	v_addc_co_u32_e64 v7, s[0:1], v37, v21, s[0:1]
	ds_read_b128 v[20:23], v107 offset:512
	v_mul_f64 v[14:15], v[14:15], s[4:5]
	v_fma_f64 v[28:29], v[4:5], v[24:25], v[28:29]
	v_fma_f64 v[4:5], v[4:5], v[26:27], -v[30:31]
	ds_read_b128 v[24:27], v107 offset:768
	s_waitcnt lgkmcnt(1)
	v_mul_f64 v[34:35], v[18:19], v[22:23]
	v_mad_u64_u32 v[32:33], s[0:1], s8, v108, 0
	v_mul_f64 v[18:19], v[18:19], v[20:21]
	global_store_dwordx4 v[6:7], v[12:15], off
	v_mov_b32_e32 v30, v33
	v_mad_u64_u32 v[30:31], s[0:1], s9, v108, v[30:31]
	v_fma_f64 v[20:21], v[16:17], v[20:21], v[34:35]
	v_mul_f64 v[12:13], v[28:29], s[4:5]
	v_mul_f64 v[14:15], v[4:5], s[4:5]
	v_mov_b32_e32 v33, v30
	v_fma_f64 v[16:17], v[16:17], v[22:23], -v[18:19]
	v_mad_u64_u32 v[18:19], s[0:1], s8, v111, 0
	v_lshlrev_b64 v[4:5], 4, v[32:33]
	v_add_co_u32_e64 v4, s[0:1], v36, v4
	v_addc_co_u32_e64 v5, s[0:1], v37, v5, s[0:1]
	v_mad_u64_u32 v[22:23], s[0:1], s9, v111, v[19:20]
	global_store_dwordx4 v[4:5], v[12:15], off
	v_mov_b32_e32 v19, v22
	v_mul_f64 v[12:13], v[20:21], s[4:5]
	s_waitcnt lgkmcnt(0)
	v_mul_f64 v[20:21], v[10:11], v[26:27]
	v_mul_f64 v[10:11], v[10:11], v[24:25]
	;; [unrolled: 1-line block ×3, first 2 shown]
	v_lshlrev_b64 v[4:5], 4, v[18:19]
	ds_read_b128 v[16:19], v107 offset:1024
	v_mad_u64_u32 v[22:23], s[0:1], s8, v110, 0
	v_add_co_u32_e64 v4, s[0:1], v36, v4
	v_fma_f64 v[20:21], v[8:9], v[24:25], v[20:21]
	v_fma_f64 v[8:9], v[8:9], v[26:27], -v[10:11]
	s_waitcnt lgkmcnt(0)
	v_mul_f64 v[24:25], v[2:3], v[18:19]
	v_mul_f64 v[26:27], v[2:3], v[16:17]
	v_mov_b32_e32 v10, v23
	v_addc_co_u32_e64 v5, s[0:1], v37, v5, s[0:1]
	v_mad_u64_u32 v[10:11], s[0:1], s9, v110, v[10:11]
	global_store_dwordx4 v[4:5], v[12:15], off
	v_mul_f64 v[4:5], v[8:9], s[4:5]
	v_mov_b32_e32 v23, v10
	v_fma_f64 v[10:11], v[0:1], v[16:17], v[24:25]
	v_fma_f64 v[0:1], v[0:1], v[18:19], -v[26:27]
	v_mad_u64_u32 v[12:13], s[0:1], s8, v112, 0
	v_lshlrev_b64 v[8:9], 4, v[22:23]
	v_mul_f64 v[2:3], v[20:21], s[4:5]
	v_add_co_u32_e64 v14, s[0:1], v36, v8
	v_mov_b32_e32 v8, v13
	v_addc_co_u32_e64 v15, s[0:1], v37, v9, s[0:1]
	v_mad_u64_u32 v[16:17], s[0:1], s9, v112, v[8:9]
	v_mul_f64 v[8:9], v[10:11], s[4:5]
	v_mul_f64 v[10:11], v[0:1], s[4:5]
	v_mov_b32_e32 v13, v16
	v_lshlrev_b64 v[0:1], 4, v[12:13]
	global_store_dwordx4 v[14:15], v[2:5], off
	v_add_co_u32_e64 v0, s[0:1], v36, v0
	v_addc_co_u32_e64 v1, s[0:1], v37, v1, s[0:1]
	global_store_dwordx4 v[0:1], v[8:11], off
	s_and_b64 exec, exec, vcc
	s_cbranch_execz .LBB0_15
; %bb.14:
	global_load_dwordx4 v[0:3], v[104:105], off offset:160
	global_load_dwordx4 v[8:11], v[104:105], off offset:416
	global_load_dwordx4 v[12:15], v[104:105], off offset:672
	global_load_dwordx4 v[16:19], v[104:105], off offset:928
	global_load_dwordx4 v[20:23], v[104:105], off offset:1184
	ds_read_b128 v[24:27], v107 offset:160
	ds_read_b128 v[28:31], v107 offset:416
	v_mov_b32_e32 v4, 0xa0
	v_mad_u64_u32 v[40:41], s[2:3], s8, v4, v[6:7]
	ds_read_b128 v[4:7], v107 offset:672
	ds_read_b128 v[32:35], v107 offset:928
	;; [unrolled: 1-line block ×3, first 2 shown]
	s_mul_i32 s6, s9, 0xa0
	s_lshl_b64 s[0:1], s[8:9], 8
	v_mov_b32_e32 v58, s1
	v_add_u32_e32 v41, s6, v41
	v_add_co_u32_e32 v42, vcc, s0, v40
	v_addc_co_u32_e32 v43, vcc, v41, v58, vcc
	v_add_co_u32_e32 v44, vcc, s0, v42
	v_addc_co_u32_e32 v45, vcc, v43, v58, vcc
	;; [unrolled: 2-line block ×3, first 2 shown]
	s_waitcnt vmcnt(4) lgkmcnt(4)
	v_mul_f64 v[48:49], v[26:27], v[2:3]
	v_mul_f64 v[2:3], v[24:25], v[2:3]
	s_waitcnt vmcnt(3) lgkmcnt(3)
	v_mul_f64 v[50:51], v[30:31], v[10:11]
	v_mul_f64 v[10:11], v[28:29], v[10:11]
	;; [unrolled: 3-line block ×5, first 2 shown]
	v_fma_f64 v[24:25], v[24:25], v[0:1], v[48:49]
	v_fma_f64 v[2:3], v[0:1], v[26:27], -v[2:3]
	v_fma_f64 v[26:27], v[28:29], v[8:9], v[50:51]
	v_fma_f64 v[8:9], v[8:9], v[30:31], -v[10:11]
	;; [unrolled: 2-line block ×5, first 2 shown]
	v_mul_f64 v[0:1], v[24:25], s[4:5]
	v_mul_f64 v[2:3], v[2:3], s[4:5]
	;; [unrolled: 1-line block ×10, first 2 shown]
	v_add_co_u32_e32 v20, vcc, s0, v46
	v_addc_co_u32_e32 v21, vcc, v47, v58, vcc
	global_store_dwordx4 v[40:41], v[0:3], off
	global_store_dwordx4 v[42:43], v[4:7], off
	;; [unrolled: 1-line block ×5, first 2 shown]
.LBB0_15:
	s_endpgm
	.section	.rodata,"a",@progbits
	.p2align	6, 0x0
	.amdhsa_kernel bluestein_single_fwd_len80_dim1_dp_op_CI_CI
		.amdhsa_group_segment_fixed_size 7680
		.amdhsa_private_segment_fixed_size 0
		.amdhsa_kernarg_size 104
		.amdhsa_user_sgpr_count 6
		.amdhsa_user_sgpr_private_segment_buffer 1
		.amdhsa_user_sgpr_dispatch_ptr 0
		.amdhsa_user_sgpr_queue_ptr 0
		.amdhsa_user_sgpr_kernarg_segment_ptr 1
		.amdhsa_user_sgpr_dispatch_id 0
		.amdhsa_user_sgpr_flat_scratch_init 0
		.amdhsa_user_sgpr_private_segment_size 0
		.amdhsa_uses_dynamic_stack 0
		.amdhsa_system_sgpr_private_segment_wavefront_offset 0
		.amdhsa_system_sgpr_workgroup_id_x 1
		.amdhsa_system_sgpr_workgroup_id_y 0
		.amdhsa_system_sgpr_workgroup_id_z 0
		.amdhsa_system_sgpr_workgroup_info 0
		.amdhsa_system_vgpr_workitem_id 0
		.amdhsa_next_free_vgpr 147
		.amdhsa_next_free_sgpr 20
		.amdhsa_reserve_vcc 1
		.amdhsa_reserve_flat_scratch 0
		.amdhsa_float_round_mode_32 0
		.amdhsa_float_round_mode_16_64 0
		.amdhsa_float_denorm_mode_32 3
		.amdhsa_float_denorm_mode_16_64 3
		.amdhsa_dx10_clamp 1
		.amdhsa_ieee_mode 1
		.amdhsa_fp16_overflow 0
		.amdhsa_exception_fp_ieee_invalid_op 0
		.amdhsa_exception_fp_denorm_src 0
		.amdhsa_exception_fp_ieee_div_zero 0
		.amdhsa_exception_fp_ieee_overflow 0
		.amdhsa_exception_fp_ieee_underflow 0
		.amdhsa_exception_fp_ieee_inexact 0
		.amdhsa_exception_int_div_zero 0
	.end_amdhsa_kernel
	.text
.Lfunc_end0:
	.size	bluestein_single_fwd_len80_dim1_dp_op_CI_CI, .Lfunc_end0-bluestein_single_fwd_len80_dim1_dp_op_CI_CI
                                        ; -- End function
	.section	.AMDGPU.csdata,"",@progbits
; Kernel info:
; codeLenInByte = 8268
; NumSgprs: 24
; NumVgprs: 147
; ScratchSize: 0
; MemoryBound: 0
; FloatMode: 240
; IeeeMode: 1
; LDSByteSize: 7680 bytes/workgroup (compile time only)
; SGPRBlocks: 2
; VGPRBlocks: 36
; NumSGPRsForWavesPerEU: 24
; NumVGPRsForWavesPerEU: 147
; Occupancy: 1
; WaveLimiterHint : 1
; COMPUTE_PGM_RSRC2:SCRATCH_EN: 0
; COMPUTE_PGM_RSRC2:USER_SGPR: 6
; COMPUTE_PGM_RSRC2:TRAP_HANDLER: 0
; COMPUTE_PGM_RSRC2:TGID_X_EN: 1
; COMPUTE_PGM_RSRC2:TGID_Y_EN: 0
; COMPUTE_PGM_RSRC2:TGID_Z_EN: 0
; COMPUTE_PGM_RSRC2:TIDIG_COMP_CNT: 0
	.type	__hip_cuid_a4cda0807228d482,@object ; @__hip_cuid_a4cda0807228d482
	.section	.bss,"aw",@nobits
	.globl	__hip_cuid_a4cda0807228d482
__hip_cuid_a4cda0807228d482:
	.byte	0                               ; 0x0
	.size	__hip_cuid_a4cda0807228d482, 1

	.ident	"AMD clang version 19.0.0git (https://github.com/RadeonOpenCompute/llvm-project roc-6.4.0 25133 c7fe45cf4b819c5991fe208aaa96edf142730f1d)"
	.section	".note.GNU-stack","",@progbits
	.addrsig
	.addrsig_sym __hip_cuid_a4cda0807228d482
	.amdgpu_metadata
---
amdhsa.kernels:
  - .args:
      - .actual_access:  read_only
        .address_space:  global
        .offset:         0
        .size:           8
        .value_kind:     global_buffer
      - .actual_access:  read_only
        .address_space:  global
        .offset:         8
        .size:           8
        .value_kind:     global_buffer
      - .actual_access:  read_only
        .address_space:  global
        .offset:         16
        .size:           8
        .value_kind:     global_buffer
      - .actual_access:  read_only
        .address_space:  global
        .offset:         24
        .size:           8
        .value_kind:     global_buffer
      - .actual_access:  read_only
        .address_space:  global
        .offset:         32
        .size:           8
        .value_kind:     global_buffer
      - .offset:         40
        .size:           8
        .value_kind:     by_value
      - .address_space:  global
        .offset:         48
        .size:           8
        .value_kind:     global_buffer
      - .address_space:  global
        .offset:         56
        .size:           8
        .value_kind:     global_buffer
      - .address_space:  global
        .offset:         64
        .size:           8
        .value_kind:     global_buffer
      - .address_space:  global
        .offset:         72
        .size:           8
        .value_kind:     global_buffer
      - .offset:         80
        .size:           4
        .value_kind:     by_value
      - .address_space:  global
        .offset:         88
        .size:           8
        .value_kind:     global_buffer
      - .address_space:  global
        .offset:         96
        .size:           8
        .value_kind:     global_buffer
    .group_segment_fixed_size: 7680
    .kernarg_segment_align: 8
    .kernarg_segment_size: 104
    .language:       OpenCL C
    .language_version:
      - 2
      - 0
    .max_flat_workgroup_size: 60
    .name:           bluestein_single_fwd_len80_dim1_dp_op_CI_CI
    .private_segment_fixed_size: 0
    .sgpr_count:     24
    .sgpr_spill_count: 0
    .symbol:         bluestein_single_fwd_len80_dim1_dp_op_CI_CI.kd
    .uniform_work_group_size: 1
    .uses_dynamic_stack: false
    .vgpr_count:     147
    .vgpr_spill_count: 0
    .wavefront_size: 64
amdhsa.target:   amdgcn-amd-amdhsa--gfx906
amdhsa.version:
  - 1
  - 2
...

	.end_amdgpu_metadata
